;; amdgpu-corpus repo=ROCm/rocFFT kind=compiled arch=gfx1201 opt=O3
	.text
	.amdgcn_target "amdgcn-amd-amdhsa--gfx1201"
	.amdhsa_code_object_version 6
	.protected	fft_rtc_fwd_len320_factors_10_4_4_2_wgs_64_tpt_16_halfLds_sp_ip_CI_unitstride_sbrr_dirReg ; -- Begin function fft_rtc_fwd_len320_factors_10_4_4_2_wgs_64_tpt_16_halfLds_sp_ip_CI_unitstride_sbrr_dirReg
	.globl	fft_rtc_fwd_len320_factors_10_4_4_2_wgs_64_tpt_16_halfLds_sp_ip_CI_unitstride_sbrr_dirReg
	.p2align	8
	.type	fft_rtc_fwd_len320_factors_10_4_4_2_wgs_64_tpt_16_halfLds_sp_ip_CI_unitstride_sbrr_dirReg,@function
fft_rtc_fwd_len320_factors_10_4_4_2_wgs_64_tpt_16_halfLds_sp_ip_CI_unitstride_sbrr_dirReg: ; @fft_rtc_fwd_len320_factors_10_4_4_2_wgs_64_tpt_16_halfLds_sp_ip_CI_unitstride_sbrr_dirReg
; %bb.0:
	s_clause 0x2
	s_load_b128 s[4:7], s[0:1], 0x0
	s_load_b64 s[8:9], s[0:1], 0x50
	s_load_b64 s[10:11], s[0:1], 0x18
	v_lshrrev_b32_e32 v12, 4, v0
	v_mov_b32_e32 v3, 0
	v_mov_b32_e32 v1, 0
	;; [unrolled: 1-line block ×3, first 2 shown]
	s_delay_alu instid0(VALU_DEP_4) | instskip(NEXT) | instid1(VALU_DEP_4)
	v_lshl_or_b32 v5, ttmp9, 2, v12
	v_mov_b32_e32 v6, v3
	s_wait_kmcnt 0x0
	v_cmp_lt_u64_e64 s2, s[6:7], 2
	s_delay_alu instid0(VALU_DEP_1)
	s_and_b32 vcc_lo, exec_lo, s2
	s_cbranch_vccnz .LBB0_8
; %bb.1:
	s_load_b64 s[2:3], s[0:1], 0x10
	v_mov_b32_e32 v1, 0
	v_mov_b32_e32 v2, 0
	s_add_nc_u64 s[12:13], s[10:11], 8
	s_mov_b64 s[14:15], 1
	s_wait_kmcnt 0x0
	s_add_nc_u64 s[16:17], s[2:3], 8
	s_mov_b32 s3, 0
.LBB0_2:                                ; =>This Inner Loop Header: Depth=1
	s_load_b64 s[18:19], s[16:17], 0x0
                                        ; implicit-def: $vgpr14_vgpr15
	s_mov_b32 s2, exec_lo
	s_wait_kmcnt 0x0
	v_or_b32_e32 v4, s19, v6
	s_delay_alu instid0(VALU_DEP_1)
	v_cmpx_ne_u64_e32 0, v[3:4]
	s_wait_alu 0xfffe
	s_xor_b32 s20, exec_lo, s2
	s_cbranch_execz .LBB0_4
; %bb.3:                                ;   in Loop: Header=BB0_2 Depth=1
	s_cvt_f32_u32 s2, s18
	s_cvt_f32_u32 s21, s19
	s_sub_nc_u64 s[24:25], 0, s[18:19]
	s_wait_alu 0xfffe
	s_delay_alu instid0(SALU_CYCLE_1) | instskip(SKIP_1) | instid1(SALU_CYCLE_2)
	s_fmamk_f32 s2, s21, 0x4f800000, s2
	s_wait_alu 0xfffe
	v_s_rcp_f32 s2, s2
	s_delay_alu instid0(TRANS32_DEP_1) | instskip(SKIP_1) | instid1(SALU_CYCLE_2)
	s_mul_f32 s2, s2, 0x5f7ffffc
	s_wait_alu 0xfffe
	s_mul_f32 s21, s2, 0x2f800000
	s_wait_alu 0xfffe
	s_delay_alu instid0(SALU_CYCLE_2) | instskip(SKIP_1) | instid1(SALU_CYCLE_2)
	s_trunc_f32 s21, s21
	s_wait_alu 0xfffe
	s_fmamk_f32 s2, s21, 0xcf800000, s2
	s_cvt_u32_f32 s23, s21
	s_wait_alu 0xfffe
	s_delay_alu instid0(SALU_CYCLE_1) | instskip(SKIP_1) | instid1(SALU_CYCLE_2)
	s_cvt_u32_f32 s22, s2
	s_wait_alu 0xfffe
	s_mul_u64 s[26:27], s[24:25], s[22:23]
	s_wait_alu 0xfffe
	s_mul_hi_u32 s29, s22, s27
	s_mul_i32 s28, s22, s27
	s_mul_hi_u32 s2, s22, s26
	s_mul_i32 s30, s23, s26
	s_wait_alu 0xfffe
	s_add_nc_u64 s[28:29], s[2:3], s[28:29]
	s_mul_hi_u32 s21, s23, s26
	s_mul_hi_u32 s31, s23, s27
	s_add_co_u32 s2, s28, s30
	s_wait_alu 0xfffe
	s_add_co_ci_u32 s2, s29, s21
	s_mul_i32 s26, s23, s27
	s_add_co_ci_u32 s27, s31, 0
	s_wait_alu 0xfffe
	s_add_nc_u64 s[26:27], s[2:3], s[26:27]
	s_wait_alu 0xfffe
	v_add_co_u32 v4, s2, s22, s26
	s_delay_alu instid0(VALU_DEP_1) | instskip(SKIP_1) | instid1(VALU_DEP_1)
	s_cmp_lg_u32 s2, 0
	s_add_co_ci_u32 s23, s23, s27
	v_readfirstlane_b32 s22, v4
	s_wait_alu 0xfffe
	s_delay_alu instid0(VALU_DEP_1)
	s_mul_u64 s[24:25], s[24:25], s[22:23]
	s_wait_alu 0xfffe
	s_mul_hi_u32 s27, s22, s25
	s_mul_i32 s26, s22, s25
	s_mul_hi_u32 s2, s22, s24
	s_mul_i32 s28, s23, s24
	s_wait_alu 0xfffe
	s_add_nc_u64 s[26:27], s[2:3], s[26:27]
	s_mul_hi_u32 s21, s23, s24
	s_mul_hi_u32 s22, s23, s25
	s_wait_alu 0xfffe
	s_add_co_u32 s2, s26, s28
	s_add_co_ci_u32 s2, s27, s21
	s_mul_i32 s24, s23, s25
	s_add_co_ci_u32 s25, s22, 0
	s_wait_alu 0xfffe
	s_add_nc_u64 s[24:25], s[2:3], s[24:25]
	s_wait_alu 0xfffe
	v_add_co_u32 v4, s2, v4, s24
	s_delay_alu instid0(VALU_DEP_1) | instskip(SKIP_1) | instid1(VALU_DEP_1)
	s_cmp_lg_u32 s2, 0
	s_add_co_ci_u32 s2, s23, s25
	v_mul_hi_u32 v11, v5, v4
	s_wait_alu 0xfffe
	v_mad_co_u64_u32 v[7:8], null, v5, s2, 0
	v_mad_co_u64_u32 v[9:10], null, v6, v4, 0
	;; [unrolled: 1-line block ×3, first 2 shown]
	s_delay_alu instid0(VALU_DEP_3) | instskip(SKIP_1) | instid1(VALU_DEP_4)
	v_add_co_u32 v4, vcc_lo, v11, v7
	s_wait_alu 0xfffd
	v_add_co_ci_u32_e32 v7, vcc_lo, 0, v8, vcc_lo
	s_delay_alu instid0(VALU_DEP_2) | instskip(SKIP_1) | instid1(VALU_DEP_2)
	v_add_co_u32 v4, vcc_lo, v4, v9
	s_wait_alu 0xfffd
	v_add_co_ci_u32_e32 v4, vcc_lo, v7, v10, vcc_lo
	s_wait_alu 0xfffd
	v_add_co_ci_u32_e32 v7, vcc_lo, 0, v14, vcc_lo
	s_delay_alu instid0(VALU_DEP_2) | instskip(SKIP_1) | instid1(VALU_DEP_2)
	v_add_co_u32 v4, vcc_lo, v4, v13
	s_wait_alu 0xfffd
	v_add_co_ci_u32_e32 v9, vcc_lo, 0, v7, vcc_lo
	s_delay_alu instid0(VALU_DEP_2) | instskip(SKIP_1) | instid1(VALU_DEP_3)
	v_mul_lo_u32 v10, s19, v4
	v_mad_co_u64_u32 v[7:8], null, s18, v4, 0
	v_mul_lo_u32 v11, s18, v9
	s_delay_alu instid0(VALU_DEP_2) | instskip(NEXT) | instid1(VALU_DEP_2)
	v_sub_co_u32 v7, vcc_lo, v5, v7
	v_add3_u32 v8, v8, v11, v10
	s_delay_alu instid0(VALU_DEP_1) | instskip(SKIP_1) | instid1(VALU_DEP_1)
	v_sub_nc_u32_e32 v10, v6, v8
	s_wait_alu 0xfffd
	v_subrev_co_ci_u32_e64 v10, s2, s19, v10, vcc_lo
	v_add_co_u32 v11, s2, v4, 2
	s_wait_alu 0xf1ff
	v_add_co_ci_u32_e64 v13, s2, 0, v9, s2
	v_sub_co_u32 v14, s2, v7, s18
	v_sub_co_ci_u32_e32 v8, vcc_lo, v6, v8, vcc_lo
	s_wait_alu 0xf1ff
	v_subrev_co_ci_u32_e64 v10, s2, 0, v10, s2
	s_delay_alu instid0(VALU_DEP_3) | instskip(NEXT) | instid1(VALU_DEP_3)
	v_cmp_le_u32_e32 vcc_lo, s18, v14
	v_cmp_eq_u32_e64 s2, s19, v8
	s_wait_alu 0xfffd
	v_cndmask_b32_e64 v14, 0, -1, vcc_lo
	v_cmp_le_u32_e32 vcc_lo, s19, v10
	s_wait_alu 0xfffd
	v_cndmask_b32_e64 v15, 0, -1, vcc_lo
	v_cmp_le_u32_e32 vcc_lo, s18, v7
	;; [unrolled: 3-line block ×3, first 2 shown]
	s_wait_alu 0xfffd
	v_cndmask_b32_e64 v16, 0, -1, vcc_lo
	v_cmp_eq_u32_e32 vcc_lo, s19, v10
	s_wait_alu 0xf1ff
	s_delay_alu instid0(VALU_DEP_2)
	v_cndmask_b32_e64 v7, v16, v7, s2
	s_wait_alu 0xfffd
	v_cndmask_b32_e32 v10, v15, v14, vcc_lo
	v_add_co_u32 v14, vcc_lo, v4, 1
	s_wait_alu 0xfffd
	v_add_co_ci_u32_e32 v15, vcc_lo, 0, v9, vcc_lo
	s_delay_alu instid0(VALU_DEP_3) | instskip(SKIP_1) | instid1(VALU_DEP_2)
	v_cmp_ne_u32_e32 vcc_lo, 0, v10
	s_wait_alu 0xfffd
	v_cndmask_b32_e32 v8, v15, v13, vcc_lo
	v_cndmask_b32_e32 v10, v14, v11, vcc_lo
	v_cmp_ne_u32_e32 vcc_lo, 0, v7
	s_wait_alu 0xfffd
	s_delay_alu instid0(VALU_DEP_2)
	v_dual_cndmask_b32 v15, v9, v8 :: v_dual_cndmask_b32 v14, v4, v10
.LBB0_4:                                ;   in Loop: Header=BB0_2 Depth=1
	s_wait_alu 0xfffe
	s_and_not1_saveexec_b32 s2, s20
	s_cbranch_execz .LBB0_6
; %bb.5:                                ;   in Loop: Header=BB0_2 Depth=1
	v_cvt_f32_u32_e32 v4, s18
	s_sub_co_i32 s20, 0, s18
	v_mov_b32_e32 v15, v3
	s_delay_alu instid0(VALU_DEP_2) | instskip(NEXT) | instid1(TRANS32_DEP_1)
	v_rcp_iflag_f32_e32 v4, v4
	v_mul_f32_e32 v4, 0x4f7ffffe, v4
	s_delay_alu instid0(VALU_DEP_1) | instskip(SKIP_1) | instid1(VALU_DEP_1)
	v_cvt_u32_f32_e32 v4, v4
	s_wait_alu 0xfffe
	v_mul_lo_u32 v7, s20, v4
	s_delay_alu instid0(VALU_DEP_1) | instskip(NEXT) | instid1(VALU_DEP_1)
	v_mul_hi_u32 v7, v4, v7
	v_add_nc_u32_e32 v4, v4, v7
	s_delay_alu instid0(VALU_DEP_1) | instskip(NEXT) | instid1(VALU_DEP_1)
	v_mul_hi_u32 v4, v5, v4
	v_mul_lo_u32 v7, v4, s18
	v_add_nc_u32_e32 v8, 1, v4
	s_delay_alu instid0(VALU_DEP_2) | instskip(NEXT) | instid1(VALU_DEP_1)
	v_sub_nc_u32_e32 v7, v5, v7
	v_subrev_nc_u32_e32 v9, s18, v7
	v_cmp_le_u32_e32 vcc_lo, s18, v7
	s_wait_alu 0xfffd
	s_delay_alu instid0(VALU_DEP_2) | instskip(NEXT) | instid1(VALU_DEP_1)
	v_dual_cndmask_b32 v7, v7, v9 :: v_dual_cndmask_b32 v4, v4, v8
	v_cmp_le_u32_e32 vcc_lo, s18, v7
	s_delay_alu instid0(VALU_DEP_2) | instskip(SKIP_1) | instid1(VALU_DEP_1)
	v_add_nc_u32_e32 v8, 1, v4
	s_wait_alu 0xfffd
	v_cndmask_b32_e32 v14, v4, v8, vcc_lo
.LBB0_6:                                ;   in Loop: Header=BB0_2 Depth=1
	s_wait_alu 0xfffe
	s_or_b32 exec_lo, exec_lo, s2
	s_load_b64 s[20:21], s[12:13], 0x0
	v_mul_lo_u32 v4, v15, s18
	v_mul_lo_u32 v9, v14, s19
	v_mad_co_u64_u32 v[7:8], null, v14, s18, 0
	s_add_nc_u64 s[14:15], s[14:15], 1
	s_add_nc_u64 s[12:13], s[12:13], 8
	s_wait_alu 0xfffe
	v_cmp_ge_u64_e64 s2, s[14:15], s[6:7]
	s_add_nc_u64 s[16:17], s[16:17], 8
	s_delay_alu instid0(VALU_DEP_2) | instskip(NEXT) | instid1(VALU_DEP_3)
	v_add3_u32 v4, v8, v9, v4
	v_sub_co_u32 v5, vcc_lo, v5, v7
	s_wait_alu 0xfffd
	s_delay_alu instid0(VALU_DEP_2) | instskip(SKIP_3) | instid1(VALU_DEP_2)
	v_sub_co_ci_u32_e32 v4, vcc_lo, v6, v4, vcc_lo
	s_and_b32 vcc_lo, exec_lo, s2
	s_wait_kmcnt 0x0
	v_mul_lo_u32 v6, s21, v5
	v_mul_lo_u32 v4, s20, v4
	v_mad_co_u64_u32 v[1:2], null, s20, v5, v[1:2]
	s_delay_alu instid0(VALU_DEP_1)
	v_add3_u32 v2, v6, v2, v4
	s_wait_alu 0xfffe
	s_cbranch_vccnz .LBB0_9
; %bb.7:                                ;   in Loop: Header=BB0_2 Depth=1
	v_dual_mov_b32 v5, v14 :: v_dual_mov_b32 v6, v15
	s_branch .LBB0_2
.LBB0_8:
	v_dual_mov_b32 v15, v6 :: v_dual_mov_b32 v14, v5
.LBB0_9:
	s_lshl_b64 s[2:3], s[6:7], 3
	v_and_b32_e32 v10, 15, v0
	s_wait_alu 0xfffe
	s_add_nc_u64 s[2:3], s[10:11], s[2:3]
	s_load_b64 s[2:3], s[2:3], 0x0
	s_load_b64 s[0:1], s[0:1], 0x20
	v_or_b32_e32 v0, 16, v10
	v_or_b32_e32 v8, 0x50, v10
	;; [unrolled: 1-line block ×7, first 2 shown]
	s_wait_kmcnt 0x0
	v_mul_lo_u32 v6, s2, v15
	v_mul_lo_u32 v16, s3, v14
	v_mad_co_u64_u32 v[4:5], null, s2, v14, v[1:2]
	v_cmp_gt_u64_e32 vcc_lo, s[0:1], v[14:15]
	v_cmp_le_u64_e64 s0, s[0:1], v[14:15]
	v_or_b32_e32 v1, 32, v10
	v_or_b32_e32 v15, 0x90, v10
	v_add3_u32 v5, v16, v5, v6
	s_delay_alu instid0(VALU_DEP_4)
	s_and_saveexec_b32 s1, s0
	s_wait_alu 0xfffe
	s_xor_b32 s0, exec_lo, s1
; %bb.10:
	v_or_b32_e32 v0, 16, v10
	v_or_b32_e32 v8, 0x50, v10
	;; [unrolled: 1-line block ×9, first 2 shown]
; %bb.11:
	s_wait_alu 0xfffe
	s_or_saveexec_b32 s1, s0
	v_lshlrev_b64_e32 v[5:6], 3, v[4:5]
	v_lshlrev_b32_e32 v56, 3, v10
                                        ; implicit-def: $vgpr33
                                        ; implicit-def: $vgpr39
                                        ; implicit-def: $vgpr49
                                        ; implicit-def: $vgpr51
                                        ; implicit-def: $vgpr43
                                        ; implicit-def: $vgpr53
                                        ; implicit-def: $vgpr55
                                        ; implicit-def: $vgpr41
                                        ; implicit-def: $vgpr17
                                        ; implicit-def: $vgpr29
                                        ; implicit-def: $vgpr21
                                        ; implicit-def: $vgpr31
                                        ; implicit-def: $vgpr35
                                        ; implicit-def: $vgpr25
                                        ; implicit-def: $vgpr37
                                        ; implicit-def: $vgpr23
                                        ; implicit-def: $vgpr27
                                        ; implicit-def: $vgpr19
                                        ; implicit-def: $vgpr47
                                        ; implicit-def: $vgpr45
	s_wait_alu 0xfffe
	s_xor_b32 exec_lo, exec_lo, s1
; %bb.12:
	s_delay_alu instid0(VALU_DEP_2) | instskip(SKIP_2) | instid1(VALU_DEP_2)
	v_add_co_u32 v2, s0, s8, v5
	s_wait_alu 0xf1ff
	v_add_co_ci_u32_e64 v4, s0, s9, v6, s0
	v_add_co_u32 v36, s0, v2, v56
	s_wait_alu 0xf1ff
	s_delay_alu instid0(VALU_DEP_2)
	v_add_co_ci_u32_e64 v37, s0, 0, v4, s0
	s_clause 0x13
	global_load_b64 v[32:33], v[36:37], off
	global_load_b64 v[48:49], v[36:37], off offset:512
	global_load_b64 v[50:51], v[36:37], off offset:1024
	;; [unrolled: 1-line block ×19, first 2 shown]
; %bb.13:
	s_or_b32 exec_lo, exec_lo, s1
	s_wait_loadcnt 0x10
	v_dual_add_f32 v4, v50, v52 :: v_dual_sub_f32 v57, v51, v53
	s_wait_loadcnt 0xf
	v_dual_sub_f32 v14, v49, v55 :: v_dual_sub_f32 v59, v54, v52
	v_mul_u32_u24_e32 v2, 0x140, v12
	s_delay_alu instid0(VALU_DEP_3) | instskip(SKIP_3) | instid1(VALU_DEP_4)
	v_fma_f32 v4, -0.5, v4, v32
	v_add_f32_e32 v12, v32, v48
	v_dual_add_f32 v60, v48, v54 :: v_dual_add_f32 v63, v33, v49
	v_sub_f32_e32 v62, v50, v48
	v_dual_fmamk_f32 v61, v14, 0x3f737871, v4 :: v_dual_sub_f32 v58, v48, v50
	v_fmac_f32_e32 v4, 0xbf737871, v14
	v_add_f32_e32 v64, v51, v53
	s_delay_alu instid0(VALU_DEP_3) | instskip(SKIP_1) | instid1(VALU_DEP_4)
	v_dual_sub_f32 v48, v48, v54 :: v_dual_fmac_f32 v61, 0x3f167918, v57
	v_fmac_f32_e32 v32, -0.5, v60
	v_fmac_f32_e32 v4, 0xbf167918, v57
	v_lshlrev_b32_e32 v2, 2, v2
	v_cmp_gt_u32_e64 s0, 10, v10
	s_delay_alu instid0(VALU_DEP_4) | instskip(SKIP_1) | instid1(VALU_DEP_2)
	v_fmamk_f32 v60, v57, 0xbf737871, v32
	v_dual_fmac_f32 v32, 0x3f737871, v57 :: v_dual_add_f32 v57, v63, v51
	v_fmac_f32_e32 v60, 0x3f167918, v14
	s_delay_alu instid0(VALU_DEP_2) | instskip(NEXT) | instid1(VALU_DEP_3)
	v_fmac_f32_e32 v32, 0xbf167918, v14
	v_add_f32_e32 v14, v57, v53
	v_add_f32_e32 v57, v49, v55
	v_dual_add_f32 v58, v58, v59 :: v_dual_sub_f32 v59, v52, v54
	v_add_f32_e32 v12, v12, v50
	v_sub_f32_e32 v50, v50, v52
	s_delay_alu instid0(VALU_DEP_3) | instskip(SKIP_1) | instid1(VALU_DEP_4)
	v_add_f32_e32 v59, v62, v59
	v_fma_f32 v62, -0.5, v64, v33
	v_dual_fmac_f32 v33, -0.5, v57 :: v_dual_add_f32 v12, v12, v52
	v_fmac_f32_e32 v61, 0x3e9e377a, v58
	s_delay_alu instid0(VALU_DEP_2) | instskip(SKIP_4) | instid1(VALU_DEP_2)
	v_dual_fmamk_f32 v57, v50, 0x3f737871, v33 :: v_dual_add_f32 v12, v12, v54
	v_dual_fmac_f32 v33, 0xbf737871, v50 :: v_dual_sub_f32 v52, v49, v51
	v_sub_f32_e32 v49, v51, v49
	v_sub_f32_e32 v51, v53, v55
	v_add_f32_e32 v14, v14, v55
	v_dual_add_f32 v49, v49, v51 :: v_dual_fmac_f32 v4, 0x3e9e377a, v58
	s_wait_loadcnt 0x4
	v_dual_sub_f32 v58, v55, v53 :: v_dual_add_f32 v53, v42, v46
	v_dual_fmac_f32 v60, 0x3e9e377a, v59 :: v_dual_sub_f32 v55, v44, v42
	s_delay_alu instid0(VALU_DEP_2)
	v_fma_f32 v51, -0.5, v53, v38
	s_wait_loadcnt 0x1
	v_sub_f32_e32 v53, v45, v41
	v_fmac_f32_e32 v57, 0xbf167918, v48
	v_fmac_f32_e32 v33, 0x3f167918, v48
	v_fmamk_f32 v54, v48, 0xbf737871, v62
	v_fmac_f32_e32 v62, 0x3f737871, v48
	s_delay_alu instid0(VALU_DEP_4) | instskip(NEXT) | instid1(VALU_DEP_4)
	v_dual_fmac_f32 v32, 0x3e9e377a, v59 :: v_dual_fmac_f32 v57, 0x3e9e377a, v49
	v_fmac_f32_e32 v33, 0x3e9e377a, v49
	v_dual_add_f32 v49, v43, v47 :: v_dual_add_f32 v52, v52, v58
	s_delay_alu instid0(VALU_DEP_4) | instskip(SKIP_2) | instid1(VALU_DEP_4)
	v_fmac_f32_e32 v62, 0x3f167918, v50
	v_sub_f32_e32 v58, v40, v46
	v_dual_fmac_f32 v54, 0xbf167918, v50 :: v_dual_add_f32 v59, v40, v44
	v_fma_f32 v49, -0.5, v49, v39
	v_add_f32_e32 v50, v38, v44
	s_delay_alu instid0(VALU_DEP_3) | instskip(NEXT) | instid1(VALU_DEP_4)
	v_dual_add_f32 v55, v58, v55 :: v_dual_fmac_f32 v54, 0x3e9e377a, v52
	v_dual_fmac_f32 v38, -0.5, v59 :: v_dual_sub_f32 v59, v46, v40
	v_fmac_f32_e32 v62, 0x3e9e377a, v52
	s_delay_alu instid0(VALU_DEP_4) | instskip(SKIP_2) | instid1(VALU_DEP_1)
	v_add_f32_e32 v48, v42, v50
	v_fmamk_f32 v50, v53, 0x3f737871, v51
	v_dual_sub_f32 v52, v43, v47 :: v_dual_fmac_f32 v51, 0xbf737871, v53
	v_fmac_f32_e32 v50, 0x3f167918, v52
	s_delay_alu instid0(VALU_DEP_2) | instskip(NEXT) | instid1(VALU_DEP_2)
	v_fmac_f32_e32 v51, 0xbf167918, v52
	v_fmac_f32_e32 v50, 0x3e9e377a, v55
	s_delay_alu instid0(VALU_DEP_2) | instskip(SKIP_3) | instid1(VALU_DEP_1)
	v_fmac_f32_e32 v51, 0x3e9e377a, v55
	v_sub_f32_e32 v55, v42, v44
	v_sub_f32_e32 v42, v42, v46
	v_add_f32_e32 v48, v46, v48
	v_add_f32_e32 v58, v40, v48
	v_sub_f32_e32 v40, v44, v40
	s_delay_alu instid0(VALU_DEP_1) | instskip(SKIP_1) | instid1(VALU_DEP_2)
	v_dual_add_f32 v44, v59, v55 :: v_dual_fmamk_f32 v55, v40, 0xbf737871, v49
	v_fmac_f32_e32 v49, 0x3f737871, v40
	v_fmac_f32_e32 v55, 0xbf167918, v42
	v_fmamk_f32 v48, v52, 0xbf737871, v38
	s_delay_alu instid0(VALU_DEP_1) | instskip(NEXT) | instid1(VALU_DEP_1)
	v_dual_fmac_f32 v49, 0x3f167918, v42 :: v_dual_fmac_f32 v48, 0x3f167918, v53
	v_fmac_f32_e32 v48, 0x3e9e377a, v44
	s_delay_alu instid0(VALU_DEP_1) | instskip(SKIP_2) | instid1(VALU_DEP_2)
	v_dual_sub_f32 v46, v45, v43 :: v_dual_mul_f32 v59, 0x3e9e377a, v48
	v_fmac_f32_e32 v38, 0x3f737871, v52
	v_add_f32_e32 v52, v39, v45
	v_fmac_f32_e32 v38, 0xbf167918, v53
	v_add_f32_e32 v53, v41, v45
	s_delay_alu instid0(VALU_DEP_1) | instskip(NEXT) | instid1(VALU_DEP_1)
	v_fmac_f32_e32 v39, -0.5, v53
	v_fmamk_f32 v53, v42, 0x3f737871, v39
	v_fmac_f32_e32 v39, 0xbf737871, v42
	s_delay_alu instid0(VALU_DEP_2)
	v_fmac_f32_e32 v53, 0xbf167918, v40
	v_fmac_f32_e32 v38, 0x3e9e377a, v44
	v_add_f32_e32 v44, v43, v52
	v_sub_f32_e32 v43, v43, v45
	v_sub_f32_e32 v45, v47, v41
	v_fmac_f32_e32 v39, 0x3f167918, v40
	s_delay_alu instid0(VALU_DEP_2) | instskip(NEXT) | instid1(VALU_DEP_1)
	v_add_f32_e32 v43, v45, v43
	v_fmac_f32_e32 v53, 0x3e9e377a, v43
	s_delay_alu instid0(VALU_DEP_3) | instskip(NEXT) | instid1(VALU_DEP_2)
	v_fmac_f32_e32 v39, 0x3e9e377a, v43
	v_dual_sub_f32 v52, v41, v47 :: v_dual_fmac_f32 v59, 0x3f737871, v53
	v_mul_f32_e32 v42, 0x3e9e377a, v38
	s_delay_alu instid0(VALU_DEP_1) | instskip(SKIP_1) | instid1(VALU_DEP_2)
	v_fma_f32 v64, 0x3f737871, v39, -v42
	v_mul_f32_e32 v39, 0x3e9e377a, v39
	v_add_f32_e32 v43, v32, v64
	s_delay_alu instid0(VALU_DEP_2)
	v_fma_f32 v68, 0xbf737871, v38, -v39
	v_sub_f32_e32 v39, v60, v59
	v_add_f32_e32 v46, v52, v46
	v_add_f32_e32 v42, v60, v59
	s_wait_loadcnt 0x0
	v_dual_sub_f32 v60, v36, v34 :: v_dual_sub_f32 v59, v31, v35
	s_delay_alu instid0(VALU_DEP_3) | instskip(SKIP_1) | instid1(VALU_DEP_2)
	v_fmac_f32_e32 v49, 0x3e9e377a, v46
	v_mul_f32_e32 v67, 0xbf737871, v48
	v_dual_mul_f32 v45, 0x3f4f1bbd, v49 :: v_dual_add_f32 v40, v47, v44
	v_mul_f32_e32 v44, 0x3f4f1bbd, v51
	s_delay_alu instid0(VALU_DEP_3) | instskip(SKIP_1) | instid1(VALU_DEP_4)
	v_fmac_f32_e32 v67, 0x3e9e377a, v53
	v_mul_f32_e32 v66, 0xbf167918, v50
	v_fma_f32 v69, 0xbf167918, v51, -v45
	s_delay_alu instid0(VALU_DEP_4) | instskip(SKIP_3) | instid1(VALU_DEP_4)
	v_fma_f32 v65, 0x3f167918, v49, -v44
	v_add_f32_e32 v49, v33, v68
	v_fmac_f32_e32 v55, 0x3e9e377a, v46
	v_dual_sub_f32 v45, v12, v58 :: v_dual_add_f32 v48, v57, v67
	v_add_f32_e32 v44, v4, v65
	s_delay_alu instid0(VALU_DEP_3) | instskip(SKIP_2) | instid1(VALU_DEP_3)
	v_dual_sub_f32 v53, v4, v65 :: v_dual_mul_f32 v52, 0x3f167918, v55
	v_fmac_f32_e32 v66, 0x3f4f1bbd, v55
	v_dual_add_f32 v4, v16, v28 :: v_dual_sub_f32 v55, v57, v67
	v_dual_sub_f32 v57, v33, v68 :: v_dual_fmac_f32 v52, 0x3f4f1bbd, v50
	s_delay_alu instid0(VALU_DEP_3) | instskip(SKIP_1) | instid1(VALU_DEP_3)
	v_add_f32_e32 v47, v54, v66
	v_dual_add_f32 v63, v41, v40 :: v_dual_add_f32 v40, v12, v58
	v_dual_add_f32 v4, v4, v30 :: v_dual_add_f32 v41, v61, v52
	v_sub_f32_e32 v58, v28, v30
	s_delay_alu instid0(VALU_DEP_3)
	v_add_f32_e32 v46, v14, v63
	v_sub_f32_e32 v51, v14, v63
	v_add_f32_e32 v63, v17, v29
	v_sub_f32_e32 v38, v61, v52
	v_sub_f32_e32 v52, v32, v64
	v_dual_add_f32 v64, v31, v35 :: v_dual_add_f32 v61, v28, v36
	v_dual_add_f32 v4, v4, v34 :: v_dual_add_f32 v33, v58, v60
	v_sub_f32_e32 v54, v54, v66
	s_delay_alu instid0(VALU_DEP_3) | instskip(SKIP_1) | instid1(VALU_DEP_4)
	v_fma_f32 v64, -0.5, v64, v17
	v_add_f32_e32 v12, v30, v34
	v_add_f32_e32 v4, v4, v36
	s_delay_alu instid0(VALU_DEP_2)
	v_fma_f32 v12, -0.5, v12, v16
	v_dual_fmac_f32 v16, -0.5, v61 :: v_dual_sub_f32 v61, v30, v28
	v_add_f32_e32 v50, v62, v69
	v_sub_f32_e32 v28, v28, v36
	v_sub_f32_e32 v30, v30, v34
	;; [unrolled: 1-line block ×4, first 2 shown]
	v_add_f32_e32 v36, v29, v37
	v_sub_f32_e32 v32, v29, v37
	v_dual_sub_f32 v34, v29, v31 :: v_dual_sub_f32 v29, v31, v29
	s_delay_alu instid0(VALU_DEP_3) | instskip(NEXT) | instid1(VALU_DEP_3)
	v_dual_fmamk_f32 v60, v59, 0xbf737871, v16 :: v_dual_fmac_f32 v17, -0.5, v36
	v_fmamk_f32 v14, v32, 0x3f737871, v12
	v_fmac_f32_e32 v12, 0xbf737871, v32
	v_fmac_f32_e32 v16, 0x3f737871, v59
	s_delay_alu instid0(VALU_DEP_4)
	v_fmac_f32_e32 v60, 0x3f167918, v32
	v_fmamk_f32 v36, v30, 0x3f737871, v17
	v_fmac_f32_e32 v14, 0x3f167918, v59
	v_fmac_f32_e32 v12, 0xbf167918, v59
	v_dual_add_f32 v59, v63, v31 :: v_dual_fmac_f32 v16, 0xbf167918, v32
	v_sub_f32_e32 v31, v35, v37
	v_fmac_f32_e32 v17, 0xbf737871, v30
	s_delay_alu instid0(VALU_DEP_4) | instskip(NEXT) | instid1(VALU_DEP_4)
	v_fmac_f32_e32 v12, 0x3e9e377a, v33
	v_add_f32_e32 v32, v59, v35
	v_sub_f32_e32 v59, v37, v35
	v_dual_add_f32 v35, v24, v26 :: v_dual_fmac_f32 v14, 0x3e9e377a, v33
	v_fmamk_f32 v33, v28, 0xbf737871, v64
	s_delay_alu instid0(VALU_DEP_4) | instskip(NEXT) | instid1(VALU_DEP_4)
	v_add_f32_e32 v32, v32, v37
	v_add_f32_e32 v34, v34, v59
	v_dual_fmac_f32 v64, 0x3f737871, v28 :: v_dual_sub_f32 v37, v20, v26
	v_sub_f32_e32 v59, v22, v24
	v_fmac_f32_e32 v33, 0xbf167918, v30
	s_delay_alu instid0(VALU_DEP_3)
	v_dual_add_f32 v29, v29, v31 :: v_dual_fmac_f32 v64, 0x3f167918, v30
	v_add_f32_e32 v30, v20, v18
	v_fma_f32 v31, -0.5, v35, v18
	v_sub_f32_e32 v35, v21, v23
	v_add_f32_e32 v37, v59, v37
	v_add_f32_e32 v61, v61, v62
	v_fmac_f32_e32 v33, 0x3e9e377a, v34
	v_fmac_f32_e32 v64, 0x3e9e377a, v34
	;; [unrolled: 1-line block ×3, first 2 shown]
	s_delay_alu instid0(VALU_DEP_4)
	v_dual_sub_f32 v59, v26, v20 :: v_dual_fmac_f32 v60, 0x3e9e377a, v61
	v_dual_fmac_f32 v16, 0x3e9e377a, v61 :: v_dual_add_f32 v61, v20, v22
	v_fmac_f32_e32 v36, 0xbf167918, v28
	v_sub_f32_e32 v20, v20, v22
	v_add_f32_e32 v28, v26, v30
	v_fmamk_f32 v30, v35, 0x3f737871, v31
	v_sub_f32_e32 v34, v27, v25
	v_fmac_f32_e32 v36, 0x3e9e377a, v29
	s_delay_alu instid0(VALU_DEP_4) | instskip(SKIP_1) | instid1(VALU_DEP_4)
	v_dual_fmac_f32 v31, 0xbf737871, v35 :: v_dual_add_f32 v28, v24, v28
	v_fmac_f32_e32 v17, 0x3e9e377a, v29
	v_fmac_f32_e32 v30, 0x3f167918, v34
	s_delay_alu instid0(VALU_DEP_3) | instskip(NEXT) | instid1(VALU_DEP_2)
	v_dual_fmac_f32 v31, 0xbf167918, v34 :: v_dual_add_f32 v28, v22, v28
	v_fmac_f32_e32 v30, 0x3e9e377a, v37
	v_dual_fmac_f32 v18, -0.5, v61 :: v_dual_sub_f32 v61, v24, v22
	s_delay_alu instid0(VALU_DEP_3) | instskip(SKIP_1) | instid1(VALU_DEP_3)
	v_fmac_f32_e32 v31, 0x3e9e377a, v37
	v_dual_add_f32 v37, v25, v27 :: v_dual_sub_f32 v24, v26, v24
	v_dual_fmamk_f32 v29, v34, 0xbf737871, v18 :: v_dual_add_f32 v22, v61, v59
	v_sub_f32_e32 v26, v21, v27
	s_delay_alu instid0(VALU_DEP_2) | instskip(NEXT) | instid1(VALU_DEP_1)
	v_fmac_f32_e32 v29, 0x3f167918, v35
	v_fmac_f32_e32 v29, 0x3e9e377a, v22
	s_delay_alu instid0(VALU_DEP_1) | instskip(SKIP_4) | instid1(VALU_DEP_4)
	v_mul_f32_e32 v61, 0x3e9e377a, v29
	v_fmac_f32_e32 v18, 0x3f737871, v34
	v_fma_f32 v34, -0.5, v37, v19
	v_add_f32_e32 v37, v21, v23
	v_mul_f32_e32 v67, 0xbf737871, v29
	v_fmac_f32_e32 v18, 0xbf167918, v35
	v_add_f32_e32 v35, v21, v19
	s_delay_alu instid0(VALU_DEP_4) | instskip(SKIP_3) | instid1(VALU_DEP_4)
	v_fmac_f32_e32 v19, -0.5, v37
	v_sub_f32_e32 v21, v27, v21
	v_fmamk_f32 v59, v20, 0xbf737871, v34
	v_fmac_f32_e32 v18, 0x3e9e377a, v22
	v_dual_add_f32 v22, v27, v35 :: v_dual_fmamk_f32 v37, v24, 0x3f737871, v19
	v_sub_f32_e32 v27, v25, v23
	v_fmac_f32_e32 v19, 0xbf737871, v24
	v_sub_f32_e32 v35, v23, v25
	s_delay_alu instid0(VALU_DEP_4) | instskip(NEXT) | instid1(VALU_DEP_4)
	v_fmac_f32_e32 v37, 0xbf167918, v20
	v_add_f32_e32 v21, v27, v21
	s_delay_alu instid0(VALU_DEP_3) | instskip(NEXT) | instid1(VALU_DEP_2)
	v_dual_fmac_f32 v19, 0x3f167918, v20 :: v_dual_add_f32 v26, v35, v26
	v_fmac_f32_e32 v37, 0x3e9e377a, v21
	s_delay_alu instid0(VALU_DEP_2) | instskip(NEXT) | instid1(VALU_DEP_2)
	v_fmac_f32_e32 v19, 0x3e9e377a, v21
	v_dual_fmac_f32 v61, 0x3f737871, v37 :: v_dual_fmac_f32 v34, 0x3f737871, v20
	v_fmac_f32_e32 v67, 0x3e9e377a, v37
	v_mul_f32_e32 v21, 0x3e9e377a, v18
	v_mul_f32_e32 v35, 0x3f4f1bbd, v30
	s_delay_alu instid0(VALU_DEP_4) | instskip(NEXT) | instid1(VALU_DEP_3)
	v_dual_sub_f32 v29, v60, v61 :: v_dual_mul_f32 v66, 0xbf167918, v30
	v_fma_f32 v63, 0x3f737871, v19, -v21
	v_mul_f32_e32 v19, 0x3e9e377a, v19
	v_fmac_f32_e32 v34, 0x3f167918, v24
	v_fmac_f32_e32 v59, 0xbf167918, v24
	v_mul_f32_e32 v24, 0x3f4f1bbd, v31
	v_sub_f32_e32 v30, v16, v63
	s_delay_alu instid0(VALU_DEP_4) | instskip(NEXT) | instid1(VALU_DEP_1)
	v_fmac_f32_e32 v34, 0x3e9e377a, v26
	v_fma_f32 v65, 0x3f167918, v34, -v24
	v_add_f32_e32 v20, v25, v22
	v_mul_f32_e32 v25, 0x3f4f1bbd, v34
	v_fma_f32 v34, 0xbf737871, v18, -v19
	v_add_f32_e32 v22, v60, v61
	v_add_f32_e32 v24, v12, v65
	s_delay_alu instid0(VALU_DEP_4)
	v_fma_f32 v37, 0xbf167918, v31, -v25
	v_sub_f32_e32 v25, v4, v28
	v_fmac_f32_e32 v59, 0x3e9e377a, v26
	v_dual_sub_f32 v31, v12, v65 :: v_dual_add_f32 v62, v23, v20
	v_add_f32_e32 v20, v4, v28
	v_mul_u32_u24_e32 v4, 10, v10
	s_delay_alu instid0(VALU_DEP_4) | instskip(SKIP_3) | instid1(VALU_DEP_4)
	v_fmac_f32_e32 v35, 0x3f167918, v59
	v_mul_i32_i24_e32 v12, 10, v0
	v_dual_add_f32 v23, v16, v63 :: v_dual_lshlrev_b32 v16, 2, v10
	v_fmac_f32_e32 v66, 0x3f4f1bbd, v59
	v_add_f32_e32 v21, v14, v35
	v_sub_f32_e32 v28, v14, v35
	v_add_nc_u32_e32 v14, 0, v2
	v_add_f32_e32 v27, v17, v34
	v_sub_f32_e32 v63, v17, v34
	v_add_f32_e32 v19, v33, v66
	v_sub_f32_e32 v61, v33, v66
	v_lshl_add_u32 v4, v4, 2, v14
	v_lshl_add_u32 v12, v12, 2, v14
	ds_store_2addr_b64 v4, v[40:41], v[42:43] offset1:1
	ds_store_2addr_b64 v4, v[44:45], v[38:39] offset0:2 offset1:3
	ds_store_b64 v4, v[52:53] offset:32
	v_and_b32_e32 v41, 0xff, v3
	ds_store_2addr_b64 v12, v[20:21], v[22:23] offset1:1
	ds_store_2addr_b64 v12, v[24:25], v[28:29] offset0:2 offset1:3
	ds_store_b64 v12, v[30:31] offset:32
	v_add3_u32 v30, 0, v16, v2
	global_wb scope:SCOPE_SE
	s_wait_dscnt 0x0
	s_barrier_signal -1
	s_barrier_wait -1
	global_inv scope:SCOPE_SE
	v_add_nc_u32_e32 v34, 0x400, v30
	ds_load_2addr_b32 v[44:45], v30 offset0:160 offset1:176
	ds_load_2addr_b32 v[52:53], v30 offset0:224 offset1:240
	v_add_f32_e32 v18, v32, v62
	v_add_f32_e32 v26, v36, v67
	;; [unrolled: 1-line block ×3, first 2 shown]
	ds_load_2addr_b32 v[65:66], v34 offset1:16
	v_add_nc_u32_e32 v28, v14, v16
	v_add_nc_u32_e32 v16, -10, v10
	v_sub_f32_e32 v60, v32, v62
	v_sub_f32_e32 v62, v36, v67
	;; [unrolled: 1-line block ×3, first 2 shown]
	v_lshl_add_u32 v29, v8, 2, v14
	v_lshl_add_u32 v32, v9, 2, v14
	;; [unrolled: 1-line block ×8, first 2 shown]
	s_wait_alu 0xf1ff
	v_cndmask_b32_e64 v14, v16, v10, s0
	v_mov_b32_e32 v17, 0
	v_mad_i32_i24 v31, 0xffffffdc, v0, v12
	ds_load_2addr_b32 v[67:68], v30 offset0:192 offset1:208
	ds_load_b32 v71, v28
	ds_load_b32 v72, v29
	ds_load_b32 v73, v31
	ds_load_b32 v74, v32
	ds_load_b32 v75, v33
	ds_load_b32 v76, v35
	ds_load_b32 v77, v36
	ds_load_b32 v78, v37
	v_mul_i32_i24_e32 v16, 3, v14
	ds_load_2addr_b32 v[69:70], v34 offset0:32 offset1:48
	ds_load_b32 v79, v38
	ds_load_b32 v80, v39
	global_wb scope:SCOPE_SE
	s_wait_dscnt 0x0
	s_barrier_signal -1
	v_lshlrev_b64_e32 v[20:21], 3, v[16:17]
	s_barrier_wait -1
	global_inv scope:SCOPE_SE
	ds_store_2addr_b64 v4, v[46:47], v[48:49] offset1:1
	ds_store_2addr_b64 v4, v[50:51], v[54:55] offset0:2 offset1:3
	ds_store_b64 v4, v[57:58] offset:32
	ds_store_2addr_b64 v12, v[18:19], v[26:27] offset1:1
	ds_store_2addr_b64 v12, v[59:60], v[61:62] offset0:2 offset1:3
	ds_store_b64 v12, v[63:64] offset:32
	global_wb scope:SCOPE_SE
	s_wait_dscnt 0x0
	v_add_co_u32 v26, s0, s4, v20
	s_wait_alu 0xf1ff
	v_add_co_ci_u32_e64 v27, s0, s5, v21, s0
	s_barrier_signal -1
	s_barrier_wait -1
	global_inv scope:SCOPE_SE
	global_load_b128 v[18:21], v[26:27], off
	v_and_b32_e32 v4, 0xff, v0
	v_and_b32_e32 v22, 0xff, v1
	v_mul_lo_u16 v41, 0xcd, v41
	v_cmp_lt_u32_e64 s0, 9, v10
	v_lshlrev_b32_e32 v14, 2, v14
	v_mul_lo_u16 v4, 0xcd, v4
	v_mul_lo_u16 v40, 0xcd, v22
	v_lshrrev_b16 v54, 11, v41
	s_delay_alu instid0(VALU_DEP_3) | instskip(NEXT) | instid1(VALU_DEP_3)
	v_lshrrev_b16 v4, 11, v4
	v_lshrrev_b16 v50, 11, v40
	s_delay_alu instid0(VALU_DEP_3) | instskip(NEXT) | instid1(VALU_DEP_3)
	v_mul_lo_u16 v41, v54, 10
	v_mul_lo_u16 v12, v4, 10
	s_delay_alu instid0(VALU_DEP_3) | instskip(NEXT) | instid1(VALU_DEP_3)
	v_mul_lo_u16 v40, v50, 10
	v_sub_nc_u16 v49, v3, v41
	v_and_b32_e32 v4, 0xffff, v4
	s_delay_alu instid0(VALU_DEP_4) | instskip(NEXT) | instid1(VALU_DEP_4)
	v_sub_nc_u16 v12, v0, v12
	v_sub_nc_u16 v40, v1, v40
	s_delay_alu instid0(VALU_DEP_4) | instskip(NEXT) | instid1(VALU_DEP_4)
	v_and_b32_e32 v57, 0xff, v49
	v_mad_u32_u24 v4, 0xa0, v4, 0
	s_delay_alu instid0(VALU_DEP_4) | instskip(NEXT) | instid1(VALU_DEP_4)
	v_and_b32_e32 v12, 0xff, v12
	v_and_b32_e32 v51, 0xff, v40
	s_delay_alu instid0(VALU_DEP_4) | instskip(NEXT) | instid1(VALU_DEP_3)
	v_mul_u32_u24_e32 v49, 3, v57
	v_mul_u32_u24_e32 v16, 3, v12
	s_delay_alu instid0(VALU_DEP_3) | instskip(NEXT) | instid1(VALU_DEP_3)
	v_mul_u32_u24_e32 v40, 3, v51
	v_lshlrev_b32_e32 v83, 3, v49
	s_delay_alu instid0(VALU_DEP_3) | instskip(NEXT) | instid1(VALU_DEP_3)
	v_lshlrev_b32_e32 v16, 3, v16
	v_lshlrev_b32_e32 v55, 3, v40
	global_load_b128 v[22:25], v16, s[4:5]
	ds_load_b32 v48, v29
	ds_load_2addr_b32 v[46:47], v30 offset0:160 offset1:176
	global_load_b128 v[40:43], v55, s[4:5]
	ds_load_b32 v58, v31
	ds_load_b32 v59, v32
	;; [unrolled: 1-line block ×6, first 2 shown]
	s_wait_loadcnt_dscnt 0x207
	v_mul_f32_e32 v64, v48, v19
	v_mul_f32_e32 v81, v72, v19
	s_wait_dscnt 0x6
	v_mul_f32_e32 v19, v46, v21
	v_mul_f32_e32 v82, v44, v21
	v_fma_f32 v64, v72, v18, -v64
	v_fmac_f32_e32 v81, v48, v18
	s_delay_alu instid0(VALU_DEP_4) | instskip(NEXT) | instid1(VALU_DEP_4)
	v_fma_f32 v72, v44, v20, -v19
	v_fmac_f32_e32 v82, v46, v20
	s_clause 0x1
	global_load_b128 v[18:21], v83, s[4:5]
	global_load_b64 v[48:49], v16, s[4:5] offset:16
	s_wait_loadcnt 0x3
	v_mul_f32_e32 v44, v47, v25
	v_dual_mul_f32 v84, v45, v25 :: v_dual_and_b32 v25, 0xff, v7
	s_delay_alu instid0(VALU_DEP_2)
	v_fma_f32 v46, v45, v24, -v44
	global_load_b64 v[44:45], v55, s[4:5] offset:16
	v_fmac_f32_e32 v84, v47, v24
	v_mul_lo_u16 v24, 0xcd, v25
	s_wait_dscnt 0x4
	v_mul_f32_e32 v16, v59, v23
	v_mul_f32_e32 v55, v74, v23
	s_delay_alu instid0(VALU_DEP_3) | instskip(NEXT) | instid1(VALU_DEP_3)
	v_lshrrev_b16 v47, 11, v24
	v_fma_f32 v16, v74, v22, -v16
	s_delay_alu instid0(VALU_DEP_3)
	v_fmac_f32_e32 v55, v59, v22
	ds_load_2addr_b32 v[22:23], v30 offset0:192 offset1:208
	global_load_b64 v[24:25], v[26:27], off offset:16
	v_mul_lo_u16 v59, v47, 10
	s_wait_loadcnt_dscnt 0x403
	v_mul_f32_e32 v74, v61, v41
	s_delay_alu instid0(VALU_DEP_2) | instskip(SKIP_1) | instid1(VALU_DEP_3)
	v_sub_nc_u16 v26, v7, v59
	v_mul_f32_e32 v59, v76, v41
	v_fma_f32 v74, v76, v40, -v74
	s_delay_alu instid0(VALU_DEP_3)
	v_dual_mul_f32 v76, v67, v43 :: v_dual_and_b32 v85, 0xff, v26
	global_load_b64 v[26:27], v83, s[4:5] offset:16
	v_fmac_f32_e32 v59, v61, v40
	s_wait_dscnt 0x0
	v_mul_f32_e32 v41, v22, v43
	v_fmac_f32_e32 v76, v22, v42
	v_mul_u32_u24_e32 v22, 3, v85
	s_delay_alu instid0(VALU_DEP_3) | instskip(SKIP_1) | instid1(VALU_DEP_2)
	v_fma_f32 v61, v67, v42, -v41
	s_wait_loadcnt 0x4
	v_dual_mul_f32 v40, v23, v21 :: v_dual_lshlrev_b32 v41, 3, v22
	v_mul_f32_e32 v67, v68, v21
	s_delay_alu instid0(VALU_DEP_2) | instskip(NEXT) | instid1(VALU_DEP_2)
	v_fma_f32 v68, v68, v20, -v40
	v_fmac_f32_e32 v67, v23, v20
	global_load_b128 v[20:23], v41, s[4:5]
	v_mul_f32_e32 v40, v63, v19
	v_dual_sub_f32 v68, v77, v68 :: v_dual_sub_f32 v67, v62, v67
	s_delay_alu instid0(VALU_DEP_2) | instskip(SKIP_1) | instid1(VALU_DEP_1)
	v_fma_f32 v83, v78, v18, -v40
	v_mul_f32_e32 v78, v78, v19
	v_fmac_f32_e32 v78, v63, v18
	global_load_b64 v[18:19], v41, s[4:5] offset:16
	ds_load_2addr_b32 v[40:41], v34 offset1:16
	s_wait_loadcnt_dscnt 0x500
	v_mul_f32_e32 v42, v40, v49
	v_mul_f32_e32 v49, v65, v49
	s_delay_alu instid0(VALU_DEP_2) | instskip(SKIP_1) | instid1(VALU_DEP_2)
	v_fma_f32 v63, v65, v48, -v42
	s_wait_loadcnt 0x4
	v_dual_fmac_f32 v49, v40, v48 :: v_dual_mul_f32 v40, v41, v45
	v_mul_f32_e32 v45, v66, v45
	ds_load_2addr_b32 v[42:43], v30 offset0:224 offset1:240
	v_sub_f32_e32 v63, v16, v63
	v_sub_f32_e32 v49, v55, v49
	v_fma_f32 v48, v66, v44, -v40
	v_fmac_f32_e32 v45, v41, v44
	ds_load_2addr_b32 v[40:41], v34 offset0:32 offset1:48
	v_fma_f32 v16, v16, 2.0, -v63
	v_fma_f32 v55, v55, 2.0, -v49
	v_sub_f32_e32 v45, v59, v45
	s_delay_alu instid0(VALU_DEP_1) | instskip(SKIP_3) | instid1(VALU_DEP_2)
	v_fma_f32 v59, v59, 2.0, -v45
	s_wait_loadcnt_dscnt 0x301
	v_mul_f32_e32 v44, v43, v25
	v_dual_mul_f32 v25, v53, v25 :: v_dual_lshlrev_b32 v12, 2, v12
	v_fma_f32 v44, v53, v24, -v44
	s_wait_loadcnt_dscnt 0x200
	s_delay_alu instid0(VALU_DEP_2)
	v_dual_fmac_f32 v25, v43, v24 :: v_dual_mul_f32 v24, v40, v27
	v_mul_f32_e32 v27, v69, v27
	ds_load_b32 v43, v28
	v_dual_sub_f32 v44, v64, v44 :: v_dual_sub_f32 v25, v81, v25
	v_fma_f32 v24, v69, v26, -v24
	v_fmac_f32_e32 v27, v40, v26
	ds_load_b32 v26, v39
	v_fma_f32 v64, v64, 2.0, -v44
	v_add3_u32 v4, v4, v12, v2
	v_sub_f32_e32 v24, v83, v24
	v_and_b32_e32 v12, 0xffff, v47
	v_lshlrev_b32_e32 v47, 2, v85
	v_dual_sub_f32 v27, v78, v27 :: v_dual_sub_f32 v46, v73, v46
	s_delay_alu instid0(VALU_DEP_3) | instskip(NEXT) | instid1(VALU_DEP_2)
	v_mad_u32_u24 v12, 0xa0, v12, 0
	v_sub_f32_e32 v49, v46, v49
	v_fma_f32 v65, v73, 2.0, -v46
	s_delay_alu instid0(VALU_DEP_3) | instskip(SKIP_3) | instid1(VALU_DEP_2)
	v_add3_u32 v12, v12, v47, v2
	s_wait_loadcnt 0x1
	v_mul_f32_e32 v40, v42, v23
	v_mul_f32_e32 v23, v52, v23
	v_fma_f32 v40, v52, v22, -v40
	s_delay_alu instid0(VALU_DEP_2)
	v_fmac_f32_e32 v23, v42, v22
	ds_load_b32 v42, v38
	s_wait_dscnt 0x1
	v_mul_f32_e32 v22, v26, v21
	v_dual_mul_f32 v21, v80, v21 :: v_dual_sub_f32 v52, v43, v82
	v_sub_f32_e32 v40, v79, v40
	global_wb scope:SCOPE_SE
	s_wait_loadcnt_dscnt 0x0
	v_fma_f32 v22, v80, v20, -v22
	v_fmac_f32_e32 v21, v26, v20
	v_sub_f32_e32 v20, v71, v72
	v_mul_f32_e32 v26, v41, v19
	v_dual_mul_f32 v19, v70, v19 :: v_dual_add_f32 v44, v52, v44
	s_barrier_signal -1
	s_delay_alu instid0(VALU_DEP_3) | instskip(NEXT) | instid1(VALU_DEP_3)
	v_fma_f32 v53, v71, 2.0, -v20
	v_fma_f32 v26, v70, v18, -v26
	s_delay_alu instid0(VALU_DEP_3) | instskip(SKIP_3) | instid1(VALU_DEP_4)
	v_fmac_f32_e32 v19, v41, v18
	v_fma_f32 v18, v43, 2.0, -v52
	v_fma_f32 v71, v77, 2.0, -v68
	v_sub_f32_e32 v43, v53, v64
	v_dual_sub_f32 v64, v58, v84 :: v_dual_sub_f32 v19, v21, v19
	v_sub_f32_e32 v48, v74, v48
	v_sub_f32_e32 v23, v42, v23
	v_fma_f32 v69, v52, 2.0, -v44
	s_delay_alu instid0(VALU_DEP_4)
	v_fma_f32 v58, v58, 2.0, -v64
	v_fma_f32 v21, v21, 2.0, -v19
	v_sub_f32_e32 v19, v40, v19
	v_fma_f32 v70, v74, 2.0, -v48
	v_fma_f32 v42, v42, 2.0, -v23
	v_dual_sub_f32 v66, v58, v55 :: v_dual_sub_f32 v55, v75, v61
	v_sub_f32_e32 v61, v60, v76
	s_delay_alu instid0(VALU_DEP_3) | instskip(SKIP_2) | instid1(VALU_DEP_4)
	v_dual_sub_f32 v16, v65, v16 :: v_dual_sub_f32 v21, v42, v21
	v_sub_f32_e32 v26, v22, v26
	v_fma_f32 v41, v81, 2.0, -v25
	v_add_f32_e32 v73, v61, v48
	v_fma_f32 v48, v62, 2.0, -v67
	v_fma_f32 v62, v78, 2.0, -v27
	v_sub_f32_e32 v27, v68, v27
	v_fma_f32 v52, v65, 2.0, -v16
	v_fma_f32 v65, v75, 2.0, -v55
	v_sub_f32_e32 v25, v20, v25
	v_sub_f32_e32 v62, v48, v62
	v_fma_f32 v74, v79, 2.0, -v40
	v_fma_f32 v22, v22, 2.0, -v26
	v_add_f32_e32 v76, v23, v26
	v_fma_f32 v26, v40, 2.0, -v19
	v_fma_f32 v75, v48, 2.0, -v62
	;; [unrolled: 1-line block ×3, first 2 shown]
	s_wait_alu 0xf1ff
	v_cndmask_b32_e64 v68, 0, 0xa0, s0
	v_fma_f32 v53, v53, 2.0, -v43
	v_fma_f32 v20, v20, 2.0, -v25
	s_barrier_wait -1
	global_inv scope:SCOPE_SE
	v_add_nc_u32_e32 v40, 0, v68
	v_fma_f32 v72, v83, 2.0, -v24
	v_fma_f32 v60, v60, 2.0, -v61
	v_dual_sub_f32 v41, v18, v41 :: v_dual_sub_f32 v70, v65, v70
	s_delay_alu instid0(VALU_DEP_4)
	v_add3_u32 v14, v40, v14, v2
	v_dual_sub_f32 v45, v55, v45 :: v_dual_lshlrev_b32 v40, 2, v51
	v_dual_add_f32 v63, v64, v63 :: v_dual_sub_f32 v72, v71, v72
	ds_store_2addr_b32 v14, v53, v20 offset1:10
	v_and_b32_e32 v20, 0xffff, v50
	ds_store_2addr_b32 v14, v43, v25 offset0:20 offset1:30
	v_and_b32_e32 v25, 0xffff, v54
	v_lshlrev_b32_e32 v43, 2, v57
	v_sub_f32_e32 v59, v60, v59
	v_mad_u32_u24 v20, 0xa0, v20, 0
	v_sub_f32_e32 v22, v74, v22
	v_mad_u32_u24 v25, 0xa0, v25, 0
	v_fma_f32 v18, v18, 2.0, -v41
	v_fma_f32 v46, v46, 2.0, -v49
	;; [unrolled: 1-line block ×4, first 2 shown]
	v_add3_u32 v20, v20, v40, v2
	v_fma_f32 v58, v58, 2.0, -v66
	v_fma_f32 v64, v64, 2.0, -v63
	;; [unrolled: 1-line block ×3, first 2 shown]
	v_add3_u32 v25, v25, v43, v2
	v_fma_f32 v60, v60, 2.0, -v59
	v_fma_f32 v61, v61, 2.0, -v73
	;; [unrolled: 1-line block ×3, first 2 shown]
	ds_store_2addr_b32 v4, v52, v46 offset1:10
	ds_store_2addr_b32 v4, v16, v49 offset0:20 offset1:30
	ds_store_2addr_b32 v20, v65, v55 offset1:10
	ds_store_2addr_b32 v20, v70, v45 offset0:20 offset1:30
	;; [unrolled: 2-line block ×4, first 2 shown]
	global_wb scope:SCOPE_SE
	s_wait_dscnt 0x0
	s_barrier_signal -1
	s_barrier_wait -1
	global_inv scope:SCOPE_SE
	ds_load_2addr_b32 v[26:27], v30 offset0:160 offset1:176
	ds_load_2addr_b32 v[48:49], v30 offset0:224 offset1:240
	ds_load_2addr_b32 v[50:51], v34 offset1:16
	ds_load_2addr_b32 v[52:53], v30 offset0:192 offset1:208
	ds_load_b32 v70, v28
	ds_load_b32 v68, v29
	;; [unrolled: 1-line block ×8, first 2 shown]
	ds_load_2addr_b32 v[54:55], v34 offset0:32 offset1:48
	ds_load_b32 v80, v38
	ds_load_b32 v81, v39
	v_add_f32_e32 v24, v67, v24
	global_wb scope:SCOPE_SE
	s_wait_dscnt 0x0
	s_barrier_signal -1
	s_barrier_wait -1
	global_inv scope:SCOPE_SE
	ds_store_2addr_b32 v14, v18, v69 offset1:10
	ds_store_2addr_b32 v14, v41, v44 offset0:20 offset1:30
	ds_store_2addr_b32 v4, v58, v64 offset1:10
	ds_store_2addr_b32 v4, v66, v63 offset0:20 offset1:30
	;; [unrolled: 2-line block ×3, first 2 shown]
	v_mul_u32_u24_e32 v4, 3, v10
	v_fma_f32 v67, v67, 2.0, -v24
	v_fma_f32 v42, v42, 2.0, -v21
	;; [unrolled: 1-line block ×3, first 2 shown]
	ds_store_2addr_b32 v25, v75, v67 offset1:10
	ds_store_2addr_b32 v25, v62, v24 offset0:20 offset1:30
	ds_store_2addr_b32 v12, v42, v23 offset1:10
	ds_store_2addr_b32 v12, v21, v76 offset0:20 offset1:30
	v_lshlrev_b32_e32 v4, 3, v4
	global_wb scope:SCOPE_SE
	s_wait_dscnt 0x0
	s_barrier_signal -1
	s_barrier_wait -1
	global_inv scope:SCOPE_SE
	global_load_b128 v[18:21], v4, s[4:5] offset:240
	v_mul_i32_i24_e32 v16, 3, v0
	v_add_nc_u32_e32 v10, -8, v10
	s_delay_alu instid0(VALU_DEP_2) | instskip(NEXT) | instid1(VALU_DEP_1)
	v_lshlrev_b64_e32 v[22:23], 3, v[16:17]
	v_add_co_u32 v57, s0, s4, v22
	s_wait_alu 0xf1ff
	s_delay_alu instid0(VALU_DEP_2) | instskip(SKIP_4) | instid1(VALU_DEP_1)
	v_add_co_ci_u32_e64 v58, s0, s5, v23, s0
	v_cmp_gt_u32_e64 s0, 40, v1
	global_load_b128 v[22:25], v[57:58], off offset:240
	s_wait_alu 0xf1ff
	v_cndmask_b32_e64 v10, v10, v1, s0
	v_mul_i32_i24_e32 v16, 3, v10
	v_lshlrev_b32_e32 v10, 2, v10
	s_delay_alu instid0(VALU_DEP_2) | instskip(NEXT) | instid1(VALU_DEP_1)
	v_lshlrev_b64_e32 v[40:41], 3, v[16:17]
	v_add_co_u32 v59, s0, s4, v40
	s_wait_alu 0xf1ff
	s_delay_alu instid0(VALU_DEP_2)
	v_add_co_ci_u32_e64 v60, s0, s5, v41, s0
	s_clause 0x1
	global_load_b128 v[40:43], v[59:60], off offset:240
	global_load_b128 v[44:47], v4, s[4:5] offset:432
	ds_load_b32 v12, v29
	ds_load_2addr_b32 v[61:62], v30 offset0:160 offset1:176
	s_clause 0x2
	global_load_b64 v[63:64], v4, s[4:5] offset:256
	global_load_b64 v[57:58], v[57:58], off offset:256
	global_load_b64 v[59:60], v[59:60], off offset:256
	ds_load_b32 v14, v31
	ds_load_b32 v16, v32
	;; [unrolled: 1-line block ×6, first 2 shown]
	global_load_b64 v[65:66], v4, s[4:5] offset:448
	v_cmp_lt_u32_e64 s0, 39, v1
	s_wait_loadcnt_dscnt 0x707
	v_mul_f32_e32 v67, v12, v19
	s_wait_dscnt 0x6
	v_dual_mul_f32 v82, v68, v19 :: v_dual_mul_f32 v19, v61, v21
	v_mul_f32_e32 v83, v26, v21
	s_delay_alu instid0(VALU_DEP_3) | instskip(NEXT) | instid1(VALU_DEP_3)
	v_fma_f32 v84, v68, v18, -v67
	v_fmac_f32_e32 v82, v12, v18
	s_delay_alu instid0(VALU_DEP_4) | instskip(NEXT) | instid1(VALU_DEP_4)
	v_fma_f32 v12, v26, v20, -v19
	v_fmac_f32_e32 v83, v61, v20
	s_clause 0x1
	global_load_b128 v[18:21], v4, s[4:5] offset:816
	global_load_b64 v[67:68], v4, s[4:5] offset:832
	s_wait_loadcnt 0x8
	v_mul_f32_e32 v4, v62, v25
	s_wait_dscnt 0x4
	v_dual_mul_f32 v61, v27, v25 :: v_dual_mul_f32 v26, v16, v23
	s_delay_alu instid0(VALU_DEP_2) | instskip(NEXT) | instid1(VALU_DEP_2)
	v_fma_f32 v4, v27, v24, -v4
	v_fmac_f32_e32 v61, v62, v24
	ds_load_2addr_b32 v[24:25], v30 offset0:192 offset1:208
	v_fma_f32 v62, v72, v22, -v26
	s_wait_loadcnt 0x7
	v_dual_mul_f32 v72, v72, v23 :: v_dual_mul_f32 v85, v77, v41
	s_wait_dscnt 0x0
	v_mul_f32_e32 v26, v24, v43
	v_mul_f32_e32 v43, v52, v43
	s_delay_alu instid0(VALU_DEP_3) | instskip(NEXT) | instid1(VALU_DEP_3)
	v_fmac_f32_e32 v85, v73, v40
	v_fma_f32 v52, v52, v42, -v26
	s_wait_loadcnt 0x6
	s_delay_alu instid0(VALU_DEP_3)
	v_dual_fmac_f32 v43, v24, v42 :: v_dual_mul_f32 v24, v25, v47
	v_dual_mul_f32 v42, v53, v47 :: v_dual_mul_f32 v47, v76, v45
	v_mul_f32_e32 v45, v79, v45
	ds_load_2addr_b32 v[26:27], v34 offset1:16
	v_fma_f32 v24, v53, v46, -v24
	s_wait_loadcnt 0x5
	v_mul_f32_e32 v53, v49, v64
	v_sub_f32_e32 v43, v69, v43
	v_fmac_f32_e32 v45, v76, v44
	v_sub_f32_e32 v12, v70, v12
	v_fmac_f32_e32 v42, v25, v46
	v_fma_f32 v46, v79, v44, -v47
	ds_load_b32 v47, v28
	v_fmac_f32_e32 v72, v16, v22
	ds_load_2addr_b32 v[22:23], v30 offset0:224 offset1:240
	v_mul_f32_e32 v16, v73, v41
	ds_load_b32 v25, v39
	v_sub_f32_e32 v24, v78, v24
	v_sub_f32_e32 v4, v71, v4
	;; [unrolled: 1-line block ×3, first 2 shown]
	v_fma_f32 v16, v77, v40, -v16
	ds_load_2addr_b32 v[40:41], v34 offset0:32 offset1:48
	s_wait_loadcnt_dscnt 0x304
	v_mul_f32_e32 v73, v27, v60
	s_wait_dscnt 0x2
	v_mul_f32_e32 v44, v23, v64
	v_fmac_f32_e32 v53, v23, v63
	ds_load_b32 v23, v38
	global_wb scope:SCOPE_SE
	s_wait_loadcnt_dscnt 0x0
	s_barrier_signal -1
	v_fma_f32 v44, v49, v63, -v44
	s_barrier_wait -1
	global_inv scope:SCOPE_SE
	v_sub_f32_e32 v44, v84, v44
	v_mul_f32_e32 v64, v26, v58
	v_mul_f32_e32 v58, v50, v58
	s_delay_alu instid0(VALU_DEP_2) | instskip(NEXT) | instid1(VALU_DEP_2)
	v_fma_f32 v49, v50, v57, -v64
	v_fmac_f32_e32 v58, v26, v57
	v_fma_f32 v26, v51, v59, -v73
	v_dual_mul_f32 v50, v51, v60 :: v_dual_mul_f32 v57, v54, v66
	v_mul_f32_e32 v51, v40, v66
	s_delay_alu instid0(VALU_DEP_3) | instskip(NEXT) | instid1(VALU_DEP_3)
	v_sub_f32_e32 v26, v16, v26
	v_dual_fmac_f32 v50, v27, v59 :: v_dual_fmac_f32 v57, v40, v65
	s_delay_alu instid0(VALU_DEP_3) | instskip(SKIP_1) | instid1(VALU_DEP_4)
	v_fma_f32 v27, v54, v65, -v51
	v_fma_f32 v54, v84, 2.0, -v44
	v_fma_f32 v16, v16, 2.0, -v26
	s_delay_alu instid0(VALU_DEP_3) | instskip(NEXT) | instid1(VALU_DEP_1)
	v_sub_f32_e32 v27, v46, v27
	v_fma_f32 v46, v46, 2.0, -v27
	v_mul_f32_e32 v60, v25, v19
	v_mul_f32_e32 v19, v81, v19
	v_sub_f32_e32 v51, v82, v53
	v_fma_f32 v53, v70, 2.0, -v12
	s_delay_alu instid0(VALU_DEP_4) | instskip(NEXT) | instid1(VALU_DEP_4)
	v_fma_f32 v40, v81, v18, -v60
	v_dual_fmac_f32 v19, v25, v18 :: v_dual_mul_f32 v18, v22, v21
	v_sub_f32_e32 v25, v47, v83
	v_mul_f32_e32 v21, v48, v21
	v_fma_f32 v59, v82, 2.0, -v51
	v_mul_f32_e32 v60, v55, v68
	v_fma_f32 v18, v48, v20, -v18
	v_mul_f32_e32 v48, v41, v68
	v_fma_f32 v47, v47, 2.0, -v25
	s_delay_alu instid0(VALU_DEP_3) | instskip(NEXT) | instid1(VALU_DEP_3)
	v_dual_fmac_f32 v21, v22, v20 :: v_dual_sub_f32 v18, v80, v18
	v_fma_f32 v20, v55, v67, -v48
	s_delay_alu instid0(VALU_DEP_3) | instskip(SKIP_2) | instid1(VALU_DEP_4)
	v_sub_f32_e32 v59, v47, v59
	v_fmac_f32_e32 v60, v41, v67
	v_dual_sub_f32 v54, v53, v54 :: v_dual_sub_f32 v41, v12, v51
	v_sub_f32_e32 v20, v40, v20
	v_dual_add_f32 v51, v25, v44 :: v_dual_sub_f32 v42, v75, v42
	s_delay_alu instid0(VALU_DEP_3)
	v_fma_f32 v22, v53, 2.0, -v54
	v_fma_f32 v53, v47, 2.0, -v59
	v_sub_f32_e32 v47, v62, v49
	v_fma_f32 v40, v40, 2.0, -v20
	v_dual_sub_f32 v44, v14, v61 :: v_dual_sub_f32 v49, v72, v58
	v_fma_f32 v58, v25, 2.0, -v51
	s_delay_alu instid0(VALU_DEP_4) | instskip(SKIP_1) | instid1(VALU_DEP_4)
	v_fma_f32 v55, v62, 2.0, -v47
	v_fma_f32 v62, v69, 2.0, -v43
	v_dual_add_f32 v64, v44, v47 :: v_dual_sub_f32 v47, v45, v57
	v_fma_f32 v25, v72, 2.0, -v49
	v_fma_f32 v14, v14, 2.0, -v44
	v_add_f32_e32 v57, v43, v26
	s_delay_alu instid0(VALU_DEP_4)
	v_fma_f32 v65, v44, 2.0, -v64
	v_fma_f32 v45, v45, 2.0, -v47
	v_sub_f32_e32 v47, v24, v47
	v_dual_sub_f32 v49, v4, v49 :: v_dual_sub_f32 v50, v85, v50
	v_fma_f32 v26, v75, 2.0, -v42
	v_fma_f32 v66, v43, 2.0, -v57
	;; [unrolled: 1-line block ×3, first 2 shown]
	v_sub_f32_e32 v61, v14, v25
	v_fma_f32 v63, v85, 2.0, -v50
	v_sub_f32_e32 v44, v52, v50
	v_fma_f32 v50, v78, 2.0, -v24
	v_sub_f32_e32 v67, v26, v45
	v_sub_f32_e32 v45, v19, v60
	v_fma_f32 v25, v74, 2.0, -v52
	v_add_f32_e32 v60, v42, v27
	v_sub_f32_e32 v46, v50, v46
	v_fma_f32 v68, v26, 2.0, -v67
	s_wait_alu 0xf1ff
	v_cndmask_b32_e64 v26, 0, 0x280, s0
	v_fma_f32 v19, v19, 2.0, -v45
	v_sub_f32_e32 v55, v48, v55
	v_fma_f32 v43, v50, 2.0, -v46
	v_sub_f32_e32 v50, v23, v21
	;; [unrolled: 2-line block ×3, first 2 shown]
	v_fma_f32 v12, v12, 2.0, -v41
	v_fma_f32 v48, v48, 2.0, -v55
	;; [unrolled: 1-line block ×3, first 2 shown]
	v_sub_f32_e32 v27, v21, v40
	v_add_f32_e32 v72, v50, v20
	v_add_nc_u32_e32 v20, 0, v26
	v_fma_f32 v4, v4, 2.0, -v49
	v_sub_f32_e32 v70, v23, v19
	v_fma_f32 v19, v21, 2.0, -v27
	v_sub_f32_e32 v21, v18, v45
	v_fma_f32 v25, v25, 2.0, -v16
	v_fma_f32 v52, v52, 2.0, -v44
	v_add3_u32 v2, v20, v10, v2
	v_fma_f32 v24, v24, 2.0, -v47
	v_fma_f32 v18, v18, 2.0, -v21
	ds_store_2addr_b32 v30, v22, v12 offset1:40
	ds_store_2addr_b32 v30, v54, v41 offset0:80 offset1:120
	ds_store_2addr_b32 v31, v48, v4 offset1:40
	ds_store_2addr_b32 v31, v55, v49 offset0:80 offset1:120
	v_add_nc_u32_e32 v4, 0x200, v30
	v_fma_f32 v69, v42, 2.0, -v60
	v_fma_f32 v71, v23, 2.0, -v70
	ds_store_2addr_b32 v2, v25, v52 offset1:40
	ds_store_2addr_b32 v2, v16, v44 offset0:80 offset1:120
	ds_store_2addr_b32 v30, v43, v19 offset0:168 offset1:184
	;; [unrolled: 1-line block ×5, first 2 shown]
	global_wb scope:SCOPE_SE
	s_wait_dscnt 0x0
	s_barrier_signal -1
	s_barrier_wait -1
	global_inv scope:SCOPE_SE
	ds_load_b32 v40, v28
	ds_load_2addr_b32 v[18:19], v30 offset0:160 offset1:176
	ds_load_2addr_b32 v[20:21], v30 offset0:192 offset1:208
	ds_load_2addr_b32 v[22:23], v30 offset0:224 offset1:240
	ds_load_b32 v47, v37
	ds_load_b32 v43, v36
	;; [unrolled: 1-line block ×7, first 2 shown]
	ds_load_2addr_b32 v[24:25], v34 offset1:16
	ds_load_2addr_b32 v[26:27], v34 offset0:32 offset1:48
	ds_load_b32 v48, v38
	ds_load_b32 v49, v39
	v_sub_f32_e32 v63, v62, v63
	v_fma_f32 v14, v14, 2.0, -v61
	v_fma_f32 v10, v50, 2.0, -v72
	global_wb scope:SCOPE_SE
	s_wait_dscnt 0x0
	s_barrier_signal -1
	v_fma_f32 v62, v62, 2.0, -v63
	s_barrier_wait -1
	global_inv scope:SCOPE_SE
	ds_store_2addr_b32 v30, v53, v58 offset1:40
	ds_store_2addr_b32 v30, v59, v51 offset0:80 offset1:120
	ds_store_2addr_b32 v31, v14, v65 offset1:40
	ds_store_2addr_b32 v31, v61, v64 offset0:80 offset1:120
	;; [unrolled: 2-line block ×3, first 2 shown]
	ds_store_2addr_b32 v30, v68, v71 offset0:168 offset1:184
	ds_store_2addr_b32 v30, v69, v10 offset0:208 offset1:224
	ds_store_2addr_b32 v4, v67, v70 offset0:120 offset1:136
	ds_store_2addr_b32 v34, v60, v72 offset0:32 offset1:48
	global_wb scope:SCOPE_SE
	s_wait_dscnt 0x0
	s_barrier_signal -1
	s_barrier_wait -1
	global_inv scope:SCOPE_SE
	s_and_saveexec_b32 s0, vcc_lo
	s_cbranch_execz .LBB0_15
; %bb.14:
	v_mov_b32_e32 v16, v17
	v_mov_b32_e32 v10, v17
	v_mov_b32_e32 v14, v17
	v_mov_b32_e32 v2, v17
	v_mov_b32_e32 v12, v17
	v_mov_b32_e32 v4, v17
	v_lshlrev_b64_e32 v[50:51], 3, v[9:10]
	v_mov_b32_e32 v9, v17
	v_lshlrev_b64_e32 v[15:16], 3, v[15:16]
	v_lshlrev_b64_e32 v[54:55], 3, v[1:2]
	v_mov_b32_e32 v1, v17
	v_lshlrev_b64_e32 v[13:14], 3, v[13:14]
	v_lshlrev_b64_e32 v[11:12], 3, v[11:12]
	;; [unrolled: 1-line block ×3, first 2 shown]
	v_add_co_u32 v15, vcc_lo, s4, v15
	s_wait_alu 0xfffd
	v_add_co_ci_u32_e32 v16, vcc_lo, s5, v16, vcc_lo
	v_add_co_u32 v13, vcc_lo, s4, v13
	s_wait_alu 0xfffd
	v_add_co_ci_u32_e32 v14, vcc_lo, s5, v14, vcc_lo
	v_add_co_u32 v10, vcc_lo, s4, v11
	s_wait_alu 0xfffd
	v_add_co_ci_u32_e32 v11, vcc_lo, s5, v12, vcc_lo
	v_add_co_u32 v50, vcc_lo, s4, v50
	s_wait_alu 0xfffd
	v_add_co_ci_u32_e32 v51, vcc_lo, s5, v51, vcc_lo
	s_clause 0x3
	global_load_b64 v[15:16], v[15:16], off offset:1200
	global_load_b64 v[12:13], v[13:14], off offset:1200
	;; [unrolled: 1-line block ×4, first 2 shown]
	v_mov_b32_e32 v8, v17
	v_add_co_u32 v52, vcc_lo, s4, v52
	v_lshlrev_b64_e32 v[3:4], 3, v[3:4]
	s_wait_alu 0xfffd
	v_add_co_ci_u32_e32 v53, vcc_lo, s5, v53, vcc_lo
	v_lshlrev_b64_e32 v[0:1], 3, v[0:1]
	s_wait_loadcnt 0x0
	v_mul_f32_e32 v17, v24, v51
	v_lshlrev_b64_e32 v[7:8], 3, v[7:8]
	s_delay_alu instid0(VALU_DEP_1) | instskip(SKIP_1) | instid1(VALU_DEP_2)
	v_add_co_u32 v7, vcc_lo, s4, v7
	s_wait_alu 0xfffd
	v_add_co_ci_u32_e32 v8, vcc_lo, s5, v8, vcc_lo
	v_add_co_u32 v2, vcc_lo, s4, v3
	s_wait_alu 0xfffd
	v_add_co_ci_u32_e32 v3, vcc_lo, s5, v4, vcc_lo
	;; [unrolled: 3-line block ×4, first 2 shown]
	s_clause 0x5
	global_load_b64 v[52:53], v[52:53], off offset:1200
	global_load_b64 v[7:8], v[7:8], off offset:1200
	;; [unrolled: 1-line block ×5, first 2 shown]
	global_load_b64 v[57:58], v56, s[4:5] offset:1200
	ds_load_2addr_b32 v[59:60], v34 offset0:32 offset1:48
	ds_load_2addr_b32 v[61:62], v34 offset1:16
	ds_load_2addr_b32 v[63:64], v30 offset0:224 offset1:240
	ds_load_b32 v34, v39
	ds_load_b32 v38, v38
	;; [unrolled: 1-line block ×4, first 2 shown]
	ds_load_2addr_b32 v[36:37], v30 offset0:192 offset1:208
	ds_load_b32 v35, v35
	ds_load_b32 v66, v33
	;; [unrolled: 1-line block ×4, first 2 shown]
	ds_load_2addr_b32 v[30:31], v30 offset0:160 offset1:176
	ds_load_b32 v33, v29
	ds_load_b32 v68, v28
	v_add_co_u32 v4, vcc_lo, s8, v5
	v_mul_f32_e32 v14, v26, v13
	s_wait_alu 0xfffd
	v_add_co_ci_u32_e32 v5, vcc_lo, s9, v6, vcc_lo
	s_delay_alu instid0(VALU_DEP_3)
	v_add_co_u32 v4, vcc_lo, v4, v56
	v_mul_f32_e32 v6, v27, v16
	s_wait_dscnt 0xe
	v_mul_f32_e32 v11, v60, v16
	v_dual_mul_f32 v13, v59, v13 :: v_dual_mul_f32 v16, v25, v10
	s_wait_dscnt 0xd
	v_mul_f32_e32 v10, v62, v10
	v_mul_f32_e32 v28, v61, v51
	v_fma_f32 v11, v27, v15, -v11
	s_wait_alu 0xfffd
	v_add_co_ci_u32_e32 v5, vcc_lo, 0, v5, vcc_lo
	v_fmac_f32_e32 v17, v61, v50
	s_wait_loadcnt 0x5
	v_mul_f32_e32 v29, v23, v53
	s_wait_dscnt 0xc
	v_mul_f32_e32 v51, v64, v53
	s_wait_loadcnt 0x4
	v_mul_f32_e32 v53, v22, v8
	s_wait_loadcnt 0x0
	v_dual_mul_f32 v8, v63, v8 :: v_dual_mul_f32 v71, v18, v58
	v_dual_mul_f32 v56, v21, v3 :: v_dual_fmac_f32 v29, v64, v52
	s_wait_dscnt 0x7
	v_mul_f32_e32 v3, v37, v3
	v_mul_f32_e32 v69, v20, v55
	v_dual_mul_f32 v55, v36, v55 :: v_dual_mul_f32 v70, v19, v1
	s_wait_dscnt 0x2
	v_dual_mul_f32 v1, v31, v1 :: v_dual_mul_f32 v58, v30, v58
	v_fmac_f32_e32 v53, v63, v7
	v_dual_fmac_f32 v14, v59, v12 :: v_dual_fmac_f32 v69, v36, v54
	v_dual_fmac_f32 v6, v60, v15 :: v_dual_fmac_f32 v71, v30, v57
	v_fma_f32 v12, v26, v12, -v13
	v_fmac_f32_e32 v16, v62, v9
	v_fma_f32 v9, v25, v9, -v10
	v_fma_f32 v10, v24, v50, -v28
	;; [unrolled: 1-line block ×5, first 2 shown]
	v_sub_f32_e32 v3, v39, v14
	v_dual_fmac_f32 v56, v37, v2 :: v_dual_sub_f32 v7, v35, v16
	v_fma_f32 v20, v20, v54, -v55
	v_fmac_f32_e32 v70, v31, v0
	v_fma_f32 v22, v19, v0, -v1
	v_sub_f32_e32 v1, v34, v6
	v_fma_f32 v23, v18, v57, -v58
	v_sub_f32_e32 v0, v49, v11
	s_wait_dscnt 0x1
	v_dual_sub_f32 v2, v47, v12 :: v_dual_sub_f32 v11, v33, v29
	v_sub_f32_e32 v6, v46, v9
	v_dual_sub_f32 v9, v32, v17 :: v_dual_sub_f32 v8, v45, v10
	v_dual_sub_f32 v10, v44, v13 :: v_dual_sub_f32 v19, v67, v70
	;; [unrolled: 1-line block ×3, first 2 shown]
	v_sub_f32_e32 v17, v66, v69
	v_dual_sub_f32 v15, v65, v56 :: v_dual_sub_f32 v14, v43, v21
	s_wait_dscnt 0x0
	v_dual_sub_f32 v21, v68, v71 :: v_dual_sub_f32 v16, v42, v20
	v_sub_f32_e32 v18, v41, v22
	v_sub_f32_e32 v20, v40, v23
	v_fma_f32 v23, v34, 2.0, -v1
	v_fma_f32 v22, v49, 2.0, -v0
	;; [unrolled: 1-line block ×20, first 2 shown]
	s_clause 0x13
	global_store_b64 v[4:5], v[16:17], off offset:1536
	global_store_b64 v[4:5], v[14:15], off offset:1664
	;; [unrolled: 1-line block ×5, first 2 shown]
	global_store_b64 v[4:5], v[40:41], off
	global_store_b64 v[4:5], v[38:39], off offset:128
	global_store_b64 v[4:5], v[36:37], off offset:256
	;; [unrolled: 1-line block ×14, first 2 shown]
.LBB0_15:
	s_nop 0
	s_sendmsg sendmsg(MSG_DEALLOC_VGPRS)
	s_endpgm
	.section	.rodata,"a",@progbits
	.p2align	6, 0x0
	.amdhsa_kernel fft_rtc_fwd_len320_factors_10_4_4_2_wgs_64_tpt_16_halfLds_sp_ip_CI_unitstride_sbrr_dirReg
		.amdhsa_group_segment_fixed_size 0
		.amdhsa_private_segment_fixed_size 0
		.amdhsa_kernarg_size 88
		.amdhsa_user_sgpr_count 2
		.amdhsa_user_sgpr_dispatch_ptr 0
		.amdhsa_user_sgpr_queue_ptr 0
		.amdhsa_user_sgpr_kernarg_segment_ptr 1
		.amdhsa_user_sgpr_dispatch_id 0
		.amdhsa_user_sgpr_private_segment_size 0
		.amdhsa_wavefront_size32 1
		.amdhsa_uses_dynamic_stack 0
		.amdhsa_enable_private_segment 0
		.amdhsa_system_sgpr_workgroup_id_x 1
		.amdhsa_system_sgpr_workgroup_id_y 0
		.amdhsa_system_sgpr_workgroup_id_z 0
		.amdhsa_system_sgpr_workgroup_info 0
		.amdhsa_system_vgpr_workitem_id 0
		.amdhsa_next_free_vgpr 86
		.amdhsa_next_free_sgpr 32
		.amdhsa_reserve_vcc 1
		.amdhsa_float_round_mode_32 0
		.amdhsa_float_round_mode_16_64 0
		.amdhsa_float_denorm_mode_32 3
		.amdhsa_float_denorm_mode_16_64 3
		.amdhsa_fp16_overflow 0
		.amdhsa_workgroup_processor_mode 1
		.amdhsa_memory_ordered 1
		.amdhsa_forward_progress 0
		.amdhsa_round_robin_scheduling 0
		.amdhsa_exception_fp_ieee_invalid_op 0
		.amdhsa_exception_fp_denorm_src 0
		.amdhsa_exception_fp_ieee_div_zero 0
		.amdhsa_exception_fp_ieee_overflow 0
		.amdhsa_exception_fp_ieee_underflow 0
		.amdhsa_exception_fp_ieee_inexact 0
		.amdhsa_exception_int_div_zero 0
	.end_amdhsa_kernel
	.text
.Lfunc_end0:
	.size	fft_rtc_fwd_len320_factors_10_4_4_2_wgs_64_tpt_16_halfLds_sp_ip_CI_unitstride_sbrr_dirReg, .Lfunc_end0-fft_rtc_fwd_len320_factors_10_4_4_2_wgs_64_tpt_16_halfLds_sp_ip_CI_unitstride_sbrr_dirReg
                                        ; -- End function
	.section	.AMDGPU.csdata,"",@progbits
; Kernel info:
; codeLenInByte = 9156
; NumSgprs: 34
; NumVgprs: 86
; ScratchSize: 0
; MemoryBound: 0
; FloatMode: 240
; IeeeMode: 1
; LDSByteSize: 0 bytes/workgroup (compile time only)
; SGPRBlocks: 4
; VGPRBlocks: 10
; NumSGPRsForWavesPerEU: 34
; NumVGPRsForWavesPerEU: 86
; Occupancy: 16
; WaveLimiterHint : 1
; COMPUTE_PGM_RSRC2:SCRATCH_EN: 0
; COMPUTE_PGM_RSRC2:USER_SGPR: 2
; COMPUTE_PGM_RSRC2:TRAP_HANDLER: 0
; COMPUTE_PGM_RSRC2:TGID_X_EN: 1
; COMPUTE_PGM_RSRC2:TGID_Y_EN: 0
; COMPUTE_PGM_RSRC2:TGID_Z_EN: 0
; COMPUTE_PGM_RSRC2:TIDIG_COMP_CNT: 0
	.text
	.p2alignl 7, 3214868480
	.fill 96, 4, 3214868480
	.type	__hip_cuid_3a563b7a44ae2d5e,@object ; @__hip_cuid_3a563b7a44ae2d5e
	.section	.bss,"aw",@nobits
	.globl	__hip_cuid_3a563b7a44ae2d5e
__hip_cuid_3a563b7a44ae2d5e:
	.byte	0                               ; 0x0
	.size	__hip_cuid_3a563b7a44ae2d5e, 1

	.ident	"AMD clang version 19.0.0git (https://github.com/RadeonOpenCompute/llvm-project roc-6.4.0 25133 c7fe45cf4b819c5991fe208aaa96edf142730f1d)"
	.section	".note.GNU-stack","",@progbits
	.addrsig
	.addrsig_sym __hip_cuid_3a563b7a44ae2d5e
	.amdgpu_metadata
---
amdhsa.kernels:
  - .args:
      - .actual_access:  read_only
        .address_space:  global
        .offset:         0
        .size:           8
        .value_kind:     global_buffer
      - .offset:         8
        .size:           8
        .value_kind:     by_value
      - .actual_access:  read_only
        .address_space:  global
        .offset:         16
        .size:           8
        .value_kind:     global_buffer
      - .actual_access:  read_only
        .address_space:  global
        .offset:         24
        .size:           8
        .value_kind:     global_buffer
      - .offset:         32
        .size:           8
        .value_kind:     by_value
      - .actual_access:  read_only
        .address_space:  global
        .offset:         40
        .size:           8
        .value_kind:     global_buffer
      - .actual_access:  read_only
        .address_space:  global
        .offset:         48
        .size:           8
        .value_kind:     global_buffer
      - .offset:         56
        .size:           4
        .value_kind:     by_value
      - .actual_access:  read_only
        .address_space:  global
        .offset:         64
        .size:           8
        .value_kind:     global_buffer
      - .actual_access:  read_only
        .address_space:  global
        .offset:         72
        .size:           8
        .value_kind:     global_buffer
      - .address_space:  global
        .offset:         80
        .size:           8
        .value_kind:     global_buffer
    .group_segment_fixed_size: 0
    .kernarg_segment_align: 8
    .kernarg_segment_size: 88
    .language:       OpenCL C
    .language_version:
      - 2
      - 0
    .max_flat_workgroup_size: 64
    .name:           fft_rtc_fwd_len320_factors_10_4_4_2_wgs_64_tpt_16_halfLds_sp_ip_CI_unitstride_sbrr_dirReg
    .private_segment_fixed_size: 0
    .sgpr_count:     34
    .sgpr_spill_count: 0
    .symbol:         fft_rtc_fwd_len320_factors_10_4_4_2_wgs_64_tpt_16_halfLds_sp_ip_CI_unitstride_sbrr_dirReg.kd
    .uniform_work_group_size: 1
    .uses_dynamic_stack: false
    .vgpr_count:     86
    .vgpr_spill_count: 0
    .wavefront_size: 32
    .workgroup_processor_mode: 1
amdhsa.target:   amdgcn-amd-amdhsa--gfx1201
amdhsa.version:
  - 1
  - 2
...

	.end_amdgpu_metadata
